;; amdgpu-corpus repo=ROCm/rocFFT kind=compiled arch=gfx1201 opt=O3
	.text
	.amdgcn_target "amdgcn-amd-amdhsa--gfx1201"
	.amdhsa_code_object_version 6
	.protected	fft_rtc_fwd_len256_factors_4_4_4_4_wgs_256_tpt_32_sp_op_CI_CI_sbrc_erc_z_xy_unaligned_dirReg ; -- Begin function fft_rtc_fwd_len256_factors_4_4_4_4_wgs_256_tpt_32_sp_op_CI_CI_sbrc_erc_z_xy_unaligned_dirReg
	.globl	fft_rtc_fwd_len256_factors_4_4_4_4_wgs_256_tpt_32_sp_op_CI_CI_sbrc_erc_z_xy_unaligned_dirReg
	.p2align	8
	.type	fft_rtc_fwd_len256_factors_4_4_4_4_wgs_256_tpt_32_sp_op_CI_CI_sbrc_erc_z_xy_unaligned_dirReg,@function
fft_rtc_fwd_len256_factors_4_4_4_4_wgs_256_tpt_32_sp_op_CI_CI_sbrc_erc_z_xy_unaligned_dirReg: ; @fft_rtc_fwd_len256_factors_4_4_4_4_wgs_256_tpt_32_sp_op_CI_CI_sbrc_erc_z_xy_unaligned_dirReg
; %bb.0:
	s_clause 0x1
	s_load_b256 s[4:11], s[0:1], 0x0
	s_load_b64 s[20:21], s[0:1], 0x20
	s_wait_kmcnt 0x0
	s_load_b128 s[12:15], s[8:9], 0x8
	s_load_b32 s28, s[10:11], 0x10
	s_wait_kmcnt 0x0
	s_add_co_i32 s2, s12, -1
	s_delay_alu instid0(SALU_CYCLE_1) | instskip(NEXT) | instid1(SALU_CYCLE_1)
	s_lshr_b32 s2, s2, 3
	s_add_co_i32 s3, s2, 1
	s_delay_alu instid0(SALU_CYCLE_1) | instskip(SKIP_3) | instid1(SALU_CYCLE_2)
	s_mul_i32 s8, s3, s14
	s_cvt_f32_u32 s13, s3
	s_cvt_f32_u32 s9, s8
	s_sub_co_i32 s14, 0, s8
	v_rcp_iflag_f32_e32 v1, s9
	s_delay_alu instid0(TRANS32_DEP_1) | instskip(SKIP_1) | instid1(VALU_DEP_1)
	v_readfirstlane_b32 s9, v1
	v_rcp_iflag_f32_e32 v1, s13
	s_mul_f32 s9, s9, 0x4f7ffffe
	s_wait_alu 0xfffe
	s_delay_alu instid0(SALU_CYCLE_2) | instskip(SKIP_1) | instid1(SALU_CYCLE_2)
	s_cvt_u32_f32 s9, s9
	s_wait_alu 0xfffe
	s_mul_i32 s14, s14, s9
	s_delay_alu instid0(SALU_CYCLE_1) | instskip(NEXT) | instid1(TRANS32_DEP_1)
	s_mul_hi_u32 s13, s9, s14
	v_readfirstlane_b32 s14, v1
	s_wait_alu 0xfffe
	s_add_co_i32 s9, s9, s13
	s_wait_alu 0xfffe
	s_mul_hi_u32 s9, ttmp9, s9
	s_mul_f32 s14, s14, 0x4f7ffffe
	s_wait_alu 0xfffe
	s_mul_i32 s13, s9, s8
	s_add_co_i32 s15, s9, 1
	s_wait_alu 0xfffe
	s_sub_co_i32 s13, ttmp9, s13
	s_wait_alu 0xfffe
	s_sub_co_i32 s16, s13, s8
	s_cmp_ge_u32 s13, s8
	s_cselect_b32 s9, s15, s9
	s_cselect_b32 s13, s16, s13
	s_load_b128 s[16:19], s[10:11], 0x0
	s_add_co_i32 s15, s9, 1
	s_cmp_ge_u32 s13, s8
	s_cvt_u32_f32 s13, s14
	s_cselect_b32 s14, s15, s9
	s_not_b32 s2, s2
	s_mul_i32 s8, s14, s8
	s_wait_alu 0xfffe
	s_mul_i32 s2, s2, s13
	s_sub_co_i32 s8, ttmp9, s8
	s_mul_hi_u32 s2, s13, s2
	s_delay_alu instid0(SALU_CYCLE_1)
	s_add_co_i32 s13, s13, s2
	s_wait_alu 0xfffe
	s_mul_hi_u32 s2, s8, s13
	s_mul_hi_u32 s13, ttmp9, s13
	s_mul_i32 s9, s2, s3
	s_wait_alu 0xfffe
	s_sub_co_i32 s8, s8, s9
	s_add_co_i32 s9, s2, 1
	s_wait_alu 0xfffe
	s_sub_co_i32 s15, s8, s3
	s_cmp_ge_u32 s8, s3
	s_cselect_b32 s2, s9, s2
	s_cselect_b32 s8, s15, s8
	s_add_co_i32 s9, s2, 1
	s_wait_alu 0xfffe
	s_cmp_ge_u32 s8, s3
	s_mul_i32 s8, s13, s3
	s_cselect_b32 s13, s9, s2
	s_wait_alu 0xfffe
	s_sub_co_i32 s2, ttmp9, s8
	s_mov_b32 s15, 0
	s_sub_co_i32 s8, s2, s3
	s_cmp_ge_u32 s2, s3
	s_mov_b32 s29, s15
	s_wait_alu 0xfffe
	s_cselect_b32 s2, s8, s2
	s_delay_alu instid0(SALU_CYCLE_1)
	s_sub_co_i32 s8, s2, s3
	s_cmp_ge_u32 s2, s3
	s_wait_kmcnt 0x0
	s_wait_alu 0xfffe
	s_cselect_b32 s19, s8, s2
	s_lshl_b64 s[24:25], s[6:7], 3
	s_lshl_b32 s6, s19, 3
	s_add_nc_u64 s[2:3], s[10:11], s[24:25]
	s_load_b64 s[26:27], s[2:3], 0x0
	s_load_b64 s[22:23], s[0:1], 0x58
	s_clause 0x1
	s_load_b128 s[8:11], s[20:21], 0x0
	s_load_b64 s[2:3], s[20:21], 0x10
	s_wait_kmcnt 0x0
	s_mul_i32 s3, s13, s28
	s_mul_i32 s11, s6, s18
	s_add_co_i32 s19, s6, 8
	s_add_co_i32 s28, s11, s3
	s_cmp_le_u32 s19, s12
	s_add_nc_u64 s[20:21], s[20:21], s[24:25]
	s_cselect_b32 s3, -1, 0
	s_mov_b32 s7, -1
	s_and_b32 vcc_lo, exec_lo, s3
	s_mul_u64 s[24:25], s[26:27], s[14:15]
	s_delay_alu instid0(SALU_CYCLE_1)
	s_add_nc_u64 s[24:25], s[24:25], s[28:29]
	s_cbranch_vccz .LBB0_2
; %bb.1:
	v_mad_co_u64_u32 v[1:2], null, s16, v0, 0
	s_lshl_b64 s[26:27], s[24:25], 3
	s_mov_b32 s19, s15
	s_add_nc_u64 s[26:27], s[22:23], s[26:27]
	s_lshl_b64 s[38:39], s[18:19], 3
	s_add_co_i32 s28, s18, s18
	s_mov_b32 s29, s15
	s_delay_alu instid0(VALU_DEP_1)
	v_mad_co_u64_u32 v[2:3], null, s17, v0, v[2:3]
	s_add_co_i32 s30, s28, s18
	s_lshl_b64 s[28:29], s[28:29], 3
	s_mov_b32 s31, s15
	s_add_co_i32 s34, s30, s18
	s_lshl_b64 s[30:31], s[30:31], 3
	s_mov_b32 s35, s15
	s_delay_alu instid0(VALU_DEP_1)
	v_lshlrev_b64_e32 v[1:2], 3, v[1:2]
	s_lshl_b64 s[40:41], s[34:35], 3
	s_mov_b32 s37, s15
	s_add_co_i32 s36, s34, s18
	v_lshl_add_u32 v17, v0, 3, 0
	s_mov_b32 s7, s15
	v_add_co_u32 v1, vcc_lo, s26, v1
	v_add_co_ci_u32_e32 v2, vcc_lo, s27, v2, vcc_lo
	s_lshl_b64 s[26:27], s[36:37], 3
	s_delay_alu instid0(VALU_DEP_2) | instskip(SKIP_1) | instid1(VALU_DEP_2)
	v_add_co_u32 v3, vcc_lo, v1, s38
	s_wait_alu 0xfffd
	v_add_co_ci_u32_e32 v4, vcc_lo, s39, v2, vcc_lo
	v_add_co_u32 v5, vcc_lo, v1, s28
	s_wait_alu 0xfffd
	v_add_co_ci_u32_e32 v6, vcc_lo, s29, v2, vcc_lo
	;; [unrolled: 3-line block ×4, first 2 shown]
	s_add_co_i32 s28, s36, s18
	s_mov_b32 s29, s15
	s_wait_alu 0xfffe
	v_add_co_u32 v11, vcc_lo, v1, s26
	s_wait_alu 0xfffd
	v_add_co_ci_u32_e32 v12, vcc_lo, s27, v2, vcc_lo
	s_lshl_b64 s[26:27], s[28:29], 3
	s_add_co_i32 s28, s28, s18
	s_wait_alu 0xfffe
	v_add_co_u32 v13, vcc_lo, v1, s26
	s_wait_alu 0xfffd
	v_add_co_ci_u32_e32 v14, vcc_lo, s27, v2, vcc_lo
	s_lshl_b64 s[26:27], s[28:29], 3
	s_wait_alu 0xfffe
	v_add_co_u32 v15, vcc_lo, v1, s26
	s_wait_alu 0xfffd
	v_add_co_ci_u32_e32 v16, vcc_lo, s27, v2, vcc_lo
	s_clause 0x7
	global_load_b64 v[1:2], v[1:2], off
	global_load_b64 v[3:4], v[3:4], off
	;; [unrolled: 1-line block ×8, first 2 shown]
	s_wait_loadcnt 0x7
	ds_store_b64 v17, v[1:2]
	s_wait_loadcnt 0x6
	ds_store_b64 v17, v[3:4] offset:2056
	s_wait_loadcnt 0x5
	ds_store_b64 v17, v[5:6] offset:4112
	;; [unrolled: 2-line block ×7, first 2 shown]
.LBB0_2:
	s_load_b64 s[20:21], s[20:21], 0x0
	s_and_not1_b32 vcc_lo, exec_lo, s7
	s_wait_alu 0xfffe
	s_cbranch_vccnz .LBB0_7
; %bb.3:
	s_cmp_lt_u32 s6, s12
	s_cselect_b32 s11, -1, 0
	s_delay_alu instid0(SALU_CYCLE_1)
	s_and_saveexec_b32 s7, s11
	s_cbranch_execz .LBB0_6
; %bb.4:
	v_mad_co_u64_u32 v[1:2], null, s16, v0, 0
	v_lshl_add_u32 v4, v0, 3, 0
	s_mov_b32 s11, 0
	s_delay_alu instid0(VALU_DEP_2) | instskip(SKIP_4) | instid1(VALU_DEP_2)
	v_mad_co_u64_u32 v[2:3], null, s17, v0, v[2:3]
	s_lshl_b64 s[16:17], s[24:25], 3
	v_mov_b32_e32 v3, s6
	s_wait_alu 0xfffe
	s_add_nc_u64 s[16:17], s[22:23], s[16:17]
	v_lshlrev_b64_e32 v[5:6], 3, v[1:2]
	v_mov_b32_e32 v2, 0
	s_delay_alu instid0(VALU_DEP_1) | instskip(SKIP_1) | instid1(VALU_DEP_3)
	v_mov_b32_e32 v1, v2
	s_wait_alu 0xfffe
	v_add_co_u32 v5, vcc_lo, s16, v5
	s_wait_alu 0xfffd
	v_add_co_ci_u32_e32 v6, vcc_lo, s17, v6, vcc_lo
.LBB0_5:                                ; =>This Inner Loop Header: Depth=1
	v_lshlrev_b64_e32 v[7:8], 3, v[1:2]
	v_add_nc_u32_e32 v3, 1, v3
	v_add_nc_u32_e32 v1, s18, v1
	s_delay_alu instid0(VALU_DEP_3) | instskip(SKIP_1) | instid1(VALU_DEP_4)
	v_add_co_u32 v7, vcc_lo, v5, v7
	s_wait_alu 0xfffd
	v_add_co_ci_u32_e32 v8, vcc_lo, v6, v8, vcc_lo
	v_cmp_le_u32_e32 vcc_lo, s12, v3
	global_load_b64 v[7:8], v[7:8], off
	s_or_b32 s11, vcc_lo, s11
	s_wait_loadcnt 0x0
	ds_store_b64 v4, v[7:8]
	v_add_nc_u32_e32 v4, 0x808, v4
	s_and_not1_b32 exec_lo, exec_lo, s11
	s_cbranch_execnz .LBB0_5
.LBB0_6:
	s_or_b32 exec_lo, exec_lo, s7
.LBB0_7:
	v_lshrrev_b32_e32 v1, 5, v0
	v_and_b32_e32 v25, 31, v0
	global_wb scope:SCOPE_SE
	s_wait_dscnt 0x0
	s_wait_kmcnt 0x0
	s_barrier_signal -1
	s_barrier_wait -1
	v_mul_u32_u24_e32 v1, 0x101, v1
	v_lshlrev_b32_e32 v2, 3, v25
	global_inv scope:SCOPE_SE
	s_and_not1_b32 vcc_lo, exec_lo, s3
	v_lshlrev_b32_e32 v1, 3, v1
	s_delay_alu instid0(VALU_DEP_1)
	v_add_nc_u32_e32 v26, 0, v1
	v_add3_u32 v1, 0, v2, v1
	ds_load_2addr_b64 v[3:6], v1 offset0:32 offset1:64
	ds_load_2addr_b64 v[7:10], v1 offset0:160 offset1:192
	s_wait_dscnt 0x0
	v_dual_sub_f32 v27, v4, v8 :: v_dual_add_nc_u32 v2, v26, v2
	v_sub_f32_e32 v9, v5, v9
	ds_load_2addr_b64 v[11:14], v1 offset0:96 offset1:128
	ds_load_b64 v[15:16], v2
	ds_load_b64 v[17:18], v1 offset:1792
	v_dual_sub_f32 v10, v6, v10 :: v_dual_and_b32 v21, 3, v0
	v_sub_f32_e32 v24, v3, v7
	v_fma_f32 v7, v5, 2.0, -v9
	v_fma_f32 v29, v4, 2.0, -v27
	v_or_b32_e32 v22, 32, v25
	v_fma_f32 v8, v6, 2.0, -v10
	v_fma_f32 v28, v3, 2.0, -v24
	v_mad_u32_u24 v23, v25, 24, v1
	global_wb scope:SCOPE_SE
	s_wait_dscnt 0x0
	s_barrier_signal -1
	s_barrier_wait -1
	global_inv scope:SCOPE_SE
	v_mad_i32_i24 v33, 0xffffffe8, v25, v23
	v_sub_f32_e32 v14, v16, v14
	v_mul_u32_u24_e32 v19, 3, v21
	v_dual_sub_f32 v5, v12, v18 :: v_dual_sub_f32 v6, v11, v17
	v_lshl_add_u32 v20, v22, 5, v26
	s_delay_alu instid0(VALU_DEP_4)
	v_fma_f32 v16, v16, 2.0, -v14
	v_sub_f32_e32 v13, v15, v13
	v_lshlrev_b32_e32 v19, 3, v19
	v_fma_f32 v11, v11, 2.0, -v6
	v_fma_f32 v12, v12, 2.0, -v5
	v_sub_f32_e32 v8, v16, v8
	v_fma_f32 v15, v15, 2.0, -v13
	v_dual_sub_f32 v3, v13, v10 :: v_dual_add_f32 v4, v14, v9
	v_dual_sub_f32 v5, v24, v5 :: v_dual_add_f32 v6, v27, v6
	s_delay_alu instid0(VALU_DEP_3) | instskip(SKIP_1) | instid1(VALU_DEP_4)
	v_dual_sub_f32 v7, v15, v7 :: v_dual_sub_f32 v12, v29, v12
	v_sub_f32_e32 v11, v28, v11
	v_fma_f32 v9, v13, 2.0, -v3
	v_fma_f32 v10, v14, 2.0, -v4
	s_delay_alu instid0(VALU_DEP_4)
	v_fma_f32 v15, v15, 2.0, -v7
	v_fma_f32 v16, v16, 2.0, -v8
	;; [unrolled: 1-line block ×5, first 2 shown]
	v_lshlrev_b32_e32 v28, 2, v25
	v_fma_f32 v18, v29, 2.0, -v12
	ds_store_2addr_b64 v23, v[15:16], v[9:10] offset1:1
	ds_store_2addr_b64 v23, v[7:8], v[3:4] offset0:2 offset1:3
	ds_store_2addr_b64 v20, v[17:18], v[13:14] offset1:1
	ds_store_2addr_b64 v20, v[11:12], v[5:6] offset0:2 offset1:3
	global_wb scope:SCOPE_SE
	s_wait_dscnt 0x0
	s_barrier_signal -1
	s_barrier_wait -1
	global_inv scope:SCOPE_SE
	s_clause 0x1
	global_load_b128 v[3:6], v19, s[4:5]
	global_load_b64 v[19:20], v19, s[4:5] offset:16
	ds_load_2addr_b64 v[7:10], v1 offset0:64 offset1:96
	ds_load_2addr_b64 v[11:14], v1 offset0:128 offset1:160
	;; [unrolled: 1-line block ×3, first 2 shown]
	v_and_b32_e32 v27, 15, v0
	v_lshlrev_b32_e32 v29, 2, v22
	v_and_or_b32 v24, 0x70, v28, v21
	s_delay_alu instid0(VALU_DEP_1)
	v_lshl_add_u32 v31, v24, 3, v26
	s_wait_loadcnt_dscnt 0x102
	v_mul_f32_e32 v34, v4, v8
	v_and_or_b32 v21, 0xf0, v29, v21
	v_mul_f32_e32 v40, v4, v10
	v_mul_u32_u24_e32 v22, 3, v27
	s_wait_dscnt 0x1
	v_dual_mul_f32 v35, v4, v7 :: v_dual_mul_f32 v36, v6, v12
	s_wait_loadcnt_dscnt 0x0
	v_mul_f32_e32 v39, v20, v15
	v_lshl_add_u32 v32, v21, 3, v26
	v_lshlrev_b32_e32 v30, 3, v22
	ds_load_b64 v[21:22], v2
	ds_load_b64 v[23:24], v33 offset:256
	v_dual_mul_f32 v37, v6, v11 :: v_dual_mul_f32 v38, v20, v16
	v_dual_mul_f32 v41, v4, v9 :: v_dual_mul_f32 v4, v6, v14
	v_dual_mul_f32 v6, v6, v13 :: v_dual_fmac_f32 v35, v3, v8
	s_delay_alu instid0(VALU_DEP_3)
	v_dual_mul_f32 v42, v20, v18 :: v_dual_fmac_f32 v37, v5, v12
	v_dual_mul_f32 v20, v20, v17 :: v_dual_fmac_f32 v39, v19, v16
	v_fma_f32 v7, v3, v7, -v34
	v_fma_f32 v8, v5, v11, -v36
	v_fma_f32 v11, v19, v15, -v38
	v_fma_f32 v9, v3, v9, -v40
	v_fmac_f32_e32 v41, v3, v10
	v_fma_f32 v3, v5, v13, -v4
	s_delay_alu instid0(VALU_DEP_4)
	v_dual_fmac_f32 v6, v5, v14 :: v_dual_sub_f32 v5, v7, v11
	v_fma_f32 v4, v19, v17, -v42
	s_wait_dscnt 0x1
	v_sub_f32_e32 v10, v21, v8
	v_sub_f32_e32 v8, v35, v39
	v_fmac_f32_e32 v20, v19, v18
	s_wait_dscnt 0x0
	v_dual_sub_f32 v12, v22, v37 :: v_dual_sub_f32 v13, v23, v3
	v_fma_f32 v15, v21, 2.0, -v10
	v_fma_f32 v7, v7, 2.0, -v5
	v_sub_f32_e32 v3, v10, v8
	v_dual_sub_f32 v11, v41, v20 :: v_dual_sub_f32 v14, v24, v6
	s_delay_alu instid0(VALU_DEP_3) | instskip(SKIP_3) | instid1(VALU_DEP_4)
	v_dual_sub_f32 v6, v9, v4 :: v_dual_sub_f32 v7, v15, v7
	v_fma_f32 v16, v22, 2.0, -v12
	v_fma_f32 v17, v35, 2.0, -v8
	;; [unrolled: 1-line block ×4, first 2 shown]
	v_add_f32_e32 v4, v12, v5
	v_fma_f32 v21, v41, 2.0, -v11
	v_sub_f32_e32 v5, v13, v11
	v_fma_f32 v19, v24, 2.0, -v14
	v_dual_sub_f32 v11, v18, v20 :: v_dual_sub_f32 v8, v16, v17
	v_fma_f32 v9, v10, 2.0, -v3
	v_fma_f32 v10, v12, 2.0, -v4
	s_delay_alu instid0(VALU_DEP_4)
	v_sub_f32_e32 v12, v19, v21
	v_mul_u32_u24_e32 v21, 3, v25
	v_add_f32_e32 v6, v14, v6
	v_fma_f32 v15, v15, 2.0, -v7
	v_fma_f32 v16, v16, 2.0, -v8
	;; [unrolled: 1-line block ×3, first 2 shown]
	v_lshlrev_b32_e32 v25, 3, v21
	v_fma_f32 v14, v14, 2.0, -v6
	v_fma_f32 v17, v18, 2.0, -v11
	;; [unrolled: 1-line block ×3, first 2 shown]
	global_wb scope:SCOPE_SE
	s_barrier_signal -1
	s_barrier_wait -1
	global_inv scope:SCOPE_SE
	ds_store_2addr_b64 v31, v[7:8], v[3:4] offset0:8 offset1:12
	ds_store_2addr_b64 v32, v[11:12], v[5:6] offset0:8 offset1:12
	ds_store_2addr_b64 v31, v[15:16], v[9:10] offset1:4
	ds_store_2addr_b64 v32, v[17:18], v[13:14] offset1:4
	global_wb scope:SCOPE_SE
	s_wait_dscnt 0x0
	s_barrier_signal -1
	s_barrier_wait -1
	global_inv scope:SCOPE_SE
	s_clause 0x1
	global_load_b128 v[3:6], v30, s[4:5] offset:96
	global_load_b64 v[19:20], v30, s[4:5] offset:112
	ds_load_2addr_b64 v[7:10], v1 offset0:64 offset1:96
	ds_load_2addr_b64 v[11:14], v1 offset0:128 offset1:160
	ds_load_2addr_b64 v[15:18], v1 offset0:192 offset1:224
	v_and_or_b32 v22, v28, 64, v27
	v_and_or_b32 v23, 0xc0, v29, v27
	s_delay_alu instid0(VALU_DEP_2) | instskip(NEXT) | instid1(VALU_DEP_2)
	v_lshl_add_u32 v27, v22, 3, v26
	v_lshl_add_u32 v26, v23, 3, v26
	ds_load_b64 v[21:22], v2
	ds_load_b64 v[23:24], v33 offset:256
	global_wb scope:SCOPE_SE
	s_wait_loadcnt_dscnt 0x0
	s_barrier_signal -1
	s_barrier_wait -1
	global_inv scope:SCOPE_SE
	v_dual_mul_f32 v31, v6, v11 :: v_dual_mul_f32 v36, v4, v9
	v_mul_f32_e32 v28, v4, v8
	v_dual_mul_f32 v29, v4, v7 :: v_dual_mul_f32 v30, v6, v12
	v_mul_f32_e32 v35, v4, v10
	s_delay_alu instid0(VALU_DEP_4) | instskip(SKIP_1) | instid1(VALU_DEP_4)
	v_dual_fmac_f32 v31, v5, v12 :: v_dual_fmac_f32 v36, v3, v10
	v_mul_f32_e32 v4, v6, v14
	v_dual_mul_f32 v34, v20, v15 :: v_dual_fmac_f32 v29, v3, v8
	v_fma_f32 v7, v3, v7, -v28
	v_fma_f32 v8, v5, v11, -v30
	;; [unrolled: 1-line block ×4, first 2 shown]
	v_mul_f32_e32 v32, v20, v16
	v_dual_mul_f32 v6, v6, v13 :: v_dual_mul_f32 v37, v20, v18
	s_delay_alu instid0(VALU_DEP_3) | instskip(NEXT) | instid1(VALU_DEP_3)
	v_dual_sub_f32 v10, v21, v8 :: v_dual_sub_f32 v13, v23, v3
	v_fma_f32 v11, v19, v15, -v32
	v_fmac_f32_e32 v34, v19, v16
	s_delay_alu instid0(VALU_DEP_4) | instskip(NEXT) | instid1(VALU_DEP_4)
	v_fma_f32 v4, v19, v17, -v37
	v_fma_f32 v15, v21, 2.0, -v10
	s_delay_alu instid0(VALU_DEP_4) | instskip(NEXT) | instid1(VALU_DEP_4)
	v_dual_fmac_f32 v6, v5, v14 :: v_dual_sub_f32 v5, v7, v11
	v_sub_f32_e32 v8, v29, v34
	v_mul_f32_e32 v20, v20, v17
	v_sub_f32_e32 v12, v22, v31
	s_delay_alu instid0(VALU_DEP_4) | instskip(NEXT) | instid1(VALU_DEP_3)
	v_fma_f32 v7, v7, 2.0, -v5
	v_dual_sub_f32 v3, v10, v8 :: v_dual_fmac_f32 v20, v19, v18
	s_delay_alu instid0(VALU_DEP_3) | instskip(SKIP_1) | instid1(VALU_DEP_4)
	v_fma_f32 v16, v22, 2.0, -v12
	v_fma_f32 v17, v29, 2.0, -v8
	v_dual_sub_f32 v7, v15, v7 :: v_dual_sub_f32 v14, v24, v6
	v_sub_f32_e32 v6, v9, v4
	v_sub_f32_e32 v11, v36, v20
	v_add_f32_e32 v4, v12, v5
	v_fma_f32 v18, v23, 2.0, -v13
	v_fma_f32 v19, v24, 2.0, -v14
	;; [unrolled: 1-line block ×4, first 2 shown]
	v_dual_sub_f32 v8, v16, v17 :: v_dual_sub_f32 v5, v13, v11
	v_add_f32_e32 v6, v14, v6
	v_fma_f32 v9, v10, 2.0, -v3
	v_fma_f32 v10, v12, 2.0, -v4
	v_dual_sub_f32 v11, v18, v20 :: v_dual_sub_f32 v12, v19, v21
	v_fma_f32 v15, v15, 2.0, -v7
	v_fma_f32 v16, v16, 2.0, -v8
	;; [unrolled: 1-line block ×6, first 2 shown]
	ds_store_2addr_b64 v27, v[7:8], v[3:4] offset0:32 offset1:48
	ds_store_2addr_b64 v26, v[11:12], v[5:6] offset0:32 offset1:48
	ds_store_2addr_b64 v27, v[15:16], v[9:10] offset1:16
	ds_store_2addr_b64 v26, v[17:18], v[13:14] offset1:16
	global_wb scope:SCOPE_SE
	s_wait_dscnt 0x0
	s_barrier_signal -1
	s_barrier_wait -1
	global_inv scope:SCOPE_SE
	s_clause 0x3
	global_load_b128 v[3:6], v25, s[4:5] offset:480
	global_load_b64 v[21:22], v25, s[4:5] offset:496
	global_load_b128 v[9:12], v25, s[4:5] offset:1248
	global_load_b64 v[23:24], v25, s[4:5] offset:1264
	ds_load_2addr_b64 v[13:16], v1 offset0:64 offset1:96
	ds_load_2addr_b64 v[17:20], v1 offset0:128 offset1:160
	ds_load_b64 v[25:26], v2
	ds_load_b64 v[27:28], v1 offset:1536
	v_add_nc_u32_e32 v2, 0x400, v1
	ds_load_b64 v[31:32], v33 offset:256
	s_load_b64 s[4:5], s[0:1], 0x60
	s_mov_b32 s1, 0
	s_mul_i32 s0, s13, s10
	ds_load_2addr_b32 v[29:30], v2 offset0:192 offset1:193
	s_mov_b32 s7, s1
	s_mul_u64 s[10:11], s[20:21], s[14:15]
	s_wait_alu 0xfffe
	s_mul_u64 s[14:15], s[8:9], s[6:7]
	v_lshrrev_b32_e32 v7, 3, v0
	s_add_nc_u64 s[14:15], s[14:15], s[0:1]
	global_wb scope:SCOPE_SE
	s_wait_loadcnt_dscnt 0x0
	s_add_nc_u64 s[10:11], s[14:15], s[10:11]
	s_wait_kmcnt 0x0
	s_barrier_signal -1
	s_barrier_wait -1
	global_inv scope:SCOPE_SE
	v_mul_f32_e32 v2, v4, v14
	v_mul_f32_e32 v4, v4, v13
	;; [unrolled: 1-line block ×7, first 2 shown]
	v_dual_mul_f32 v10, v10, v15 :: v_dual_mul_f32 v37, v12, v20
	v_mul_f32_e32 v12, v12, v19
	v_mul_f32_e32 v38, v30, v24
	;; [unrolled: 1-line block ×3, first 2 shown]
	v_fma_f32 v2, v3, v13, -v2
	v_fmac_f32_e32 v4, v3, v14
	v_fma_f32 v3, v5, v17, -v34
	v_fmac_f32_e32 v6, v5, v18
	;; [unrolled: 2-line block ×6, first 2 shown]
	v_sub_f32_e32 v14, v25, v3
	v_sub_f32_e32 v6, v26, v6
	;; [unrolled: 1-line block ×4, first 2 shown]
	v_dual_sub_f32 v15, v31, v9 :: v_dual_sub_f32 v16, v32, v12
	v_sub_f32_e32 v9, v13, v11
	v_sub_f32_e32 v11, v10, v24
	v_fma_f32 v17, v25, 2.0, -v14
	v_fma_f32 v18, v26, 2.0, -v6
	;; [unrolled: 1-line block ×3, first 2 shown]
	v_add_f32_e32 v3, v6, v3
	v_fma_f32 v19, v4, 2.0, -v5
	v_sub_f32_e32 v2, v14, v5
	v_fma_f32 v20, v31, 2.0, -v15
	v_fma_f32 v21, v32, 2.0, -v16
	v_fma_f32 v13, v13, 2.0, -v9
	v_fma_f32 v22, v10, 2.0, -v11
	v_add_f32_e32 v5, v16, v9
	v_dual_sub_f32 v9, v17, v12 :: v_dual_sub_f32 v10, v18, v19
	s_delay_alu instid0(VALU_DEP_4)
	v_dual_sub_f32 v13, v20, v13 :: v_dual_and_b32 v8, 7, v0
	v_sub_f32_e32 v4, v15, v11
	v_fma_f32 v11, v14, 2.0, -v2
	v_sub_f32_e32 v14, v21, v22
	v_fma_f32 v12, v6, 2.0, -v3
	v_fma_f32 v17, v17, 2.0, -v9
	v_fma_f32 v18, v18, 2.0, -v10
	v_fma_f32 v19, v20, 2.0, -v13
	v_fma_f32 v20, v21, 2.0, -v14
	v_fma_f32 v15, v15, 2.0, -v4
	v_fma_f32 v16, v16, 2.0, -v5
	ds_store_b64 v1, v[2:3] offset:1536
	ds_store_2addr_stride64_b64 v1, v[17:18], v[11:12] offset1:1
	ds_store_b64 v1, v[9:10] offset:1024
	ds_store_b64 v33, v[19:20] offset:256
	;; [unrolled: 1-line block ×5, first 2 shown]
	global_wb scope:SCOPE_SE
	s_wait_dscnt 0x0
	s_barrier_signal -1
	s_barrier_wait -1
	global_inv scope:SCOPE_SE
	s_cbranch_vccnz .LBB0_11
; %bb.8:
	v_mad_co_u64_u32 v[2:3], null, s8, v8, 0
	v_mul_lo_u32 v18, v7, s2
	s_lshl_b32 s1, s2, 5
	v_mov_b32_e32 v19, 0
	s_lshl_b64 s[14:15], s[10:11], 3
	s_mov_b32 s0, 0
	s_add_nc_u64 s[14:15], s[4:5], s[14:15]
	s_delay_alu instid0(VALU_DEP_3) | instskip(SKIP_3) | instid1(VALU_DEP_3)
	v_mov_b32_e32 v1, v3
	s_mov_b32 s3, exec_lo
	v_lshlrev_b64_e32 v[14:15], 3, v[18:19]
	v_add_nc_u32_e32 v18, s1, v18
	v_mad_co_u64_u32 v[3:4], null, s9, v8, v[1:2]
	v_mad_u32_u24 v1, 0x808, v8, 0
	s_delay_alu instid0(VALU_DEP_3) | instskip(SKIP_1) | instid1(VALU_DEP_3)
	v_lshlrev_b64_e32 v[16:17], 3, v[18:19]
	v_add_nc_u32_e32 v18, s1, v18
	v_lshl_add_u32 v28, v7, 3, v1
	v_lshlrev_b64_e32 v[20:21], 3, v[2:3]
	s_delay_alu instid0(VALU_DEP_3)
	v_lshlrev_b64_e32 v[22:23], 3, v[18:19]
	v_add_nc_u32_e32 v18, s1, v18
	ds_load_2addr_b64 v[3:6], v28 offset1:32
	ds_load_2addr_b64 v[10:13], v28 offset0:64 offset1:96
	v_add_co_u32 v2, vcc_lo, s14, v20
	s_wait_alu 0xfffd
	v_add_co_ci_u32_e32 v9, vcc_lo, s15, v21, vcc_lo
	v_lshlrev_b64_e32 v[26:27], 3, v[18:19]
	s_delay_alu instid0(VALU_DEP_3) | instskip(SKIP_1) | instid1(VALU_DEP_3)
	v_add_co_u32 v20, vcc_lo, v2, v14
	s_wait_alu 0xfffd
	v_add_co_ci_u32_e32 v21, vcc_lo, v9, v15, vcc_lo
	v_add_co_u32 v24, vcc_lo, v2, v16
	v_add_nc_u32_e32 v18, s1, v18
	s_wait_alu 0xfffd
	v_add_co_ci_u32_e32 v25, vcc_lo, v9, v17, vcc_lo
	ds_load_2addr_b64 v[14:17], v28 offset0:128 offset1:160
	s_wait_dscnt 0x2
	s_clause 0x1
	global_store_b64 v[20:21], v[3:4], off
	global_store_b64 v[24:25], v[5:6], off
	v_add_co_u32 v3, vcc_lo, v2, v22
	v_lshlrev_b64_e32 v[5:6], 3, v[18:19]
	v_add_nc_u32_e32 v18, s1, v18
	s_wait_alu 0xfffd
	v_add_co_ci_u32_e32 v4, vcc_lo, v9, v23, vcc_lo
	v_add_co_u32 v20, vcc_lo, v2, v26
	s_wait_alu 0xfffd
	v_add_co_ci_u32_e32 v21, vcc_lo, v9, v27, vcc_lo
	v_lshlrev_b64_e32 v[24:25], 3, v[18:19]
	v_add_nc_u32_e32 v18, s1, v18
	v_add_co_u32 v22, vcc_lo, v2, v5
	s_wait_alu 0xfffd
	v_add_co_ci_u32_e32 v23, vcc_lo, v9, v6, vcc_lo
	s_wait_dscnt 0x1
	global_store_b64 v[3:4], v[10:11], off
	ds_load_2addr_b64 v[3:6], v28 offset0:192 offset1:224
	v_lshlrev_b64_e32 v[10:11], 3, v[18:19]
	v_add_nc_u32_e32 v18, s1, v18
	global_store_b64 v[20:21], v[12:13], off
	s_wait_dscnt 0x1
	global_store_b64 v[22:23], v[14:15], off
	v_add_co_u32 v12, vcc_lo, v2, v24
	s_wait_alu 0xfffd
	v_add_co_ci_u32_e32 v13, vcc_lo, v9, v25, vcc_lo
	v_lshlrev_b64_e32 v[14:15], 3, v[18:19]
	v_add_co_u32 v10, vcc_lo, v2, v10
	s_wait_alu 0xfffd
	v_add_co_ci_u32_e32 v11, vcc_lo, v9, v11, vcc_lo
	s_mov_b32 s1, 0
	s_delay_alu instid0(VALU_DEP_3)
	v_add_co_u32 v14, vcc_lo, v2, v14
	s_wait_alu 0xfffd
	v_add_co_ci_u32_e32 v15, vcc_lo, v9, v15, vcc_lo
	global_store_b64 v[12:13], v[16:17], off
	s_wait_dscnt 0x0
	s_clause 0x1
	global_store_b64 v[10:11], v[3:4], off
	; meta instruction
	global_store_b64 v[14:15], v[5:6], off
                                        ; implicit-def: $vgpr5_vgpr6
	v_cmpx_gt_u32_e32 8, v0
	s_cbranch_execz .LBB0_10
; %bb.9:
	ds_load_b64 v[3:4], v1 offset:2048
	s_lshl_b32 s14, s2, 8
	s_mov_b32 s15, 0
	s_mov_b32 s1, exec_lo
	s_wait_alu 0xfffe
	s_lshl_b64 s[14:15], s[14:15], 3
	s_wait_alu 0xfffe
	v_add_co_u32 v5, vcc_lo, v2, s14
	s_wait_alu 0xfffd
	v_add_co_ci_u32_e32 v6, vcc_lo, s15, v9, vcc_lo
	s_wait_dscnt 0x0
	global_store_b32 v[5:6], v3, off
.LBB0_10:
	s_wait_alu 0xfffe
	s_or_b32 exec_lo, exec_lo, s3
	s_delay_alu instid0(SALU_CYCLE_1)
	s_and_b32 vcc_lo, exec_lo, s0
	s_wait_alu 0xfffe
	s_cbranch_vccnz .LBB0_12
	s_branch .LBB0_17
.LBB0_11:
                                        ; implicit-def: $vgpr4
                                        ; implicit-def: $vgpr5_vgpr6
	s_cbranch_execz .LBB0_17
.LBB0_12:
	v_or_b32_e32 v1, s6, v8
	s_mov_b32 s0, exec_lo
                                        ; implicit-def: $vgpr4
                                        ; implicit-def: $vgpr5_vgpr6
	s_delay_alu instid0(VALU_DEP_1)
	v_cmpx_gt_u32_e64 s12, v1
	s_cbranch_execz .LBB0_16
; %bb.13:
	v_mad_co_u64_u32 v[4:5], null, s8, v8, 0
	v_mov_b32_e32 v2, 0
	v_mul_lo_u32 v1, v7, s2
	s_lshl_b32 s2, s2, 5
	s_lshl_b64 s[6:7], s[10:11], 3
	s_and_b32 s3, s12, 7
	s_wait_alu 0xfffe
	s_add_nc_u64 s[4:5], s[4:5], s[6:7]
	v_mov_b32_e32 v3, v5
	s_delay_alu instid0(VALU_DEP_2) | instskip(SKIP_1) | instid1(VALU_DEP_3)
	v_lshlrev_b64_e32 v[21:22], 3, v[1:2]
	v_add_nc_u32_e32 v1, s2, v1
	v_mad_co_u64_u32 v[5:6], null, s9, v8, v[3:4]
	v_mad_u32_u24 v3, 0x808, v8, 0
	s_delay_alu instid0(VALU_DEP_3) | instskip(SKIP_1) | instid1(VALU_DEP_3)
	v_lshlrev_b64_e32 v[23:24], 3, v[1:2]
	v_add_nc_u32_e32 v1, s2, v1
	v_lshl_add_u32 v6, v7, 3, v3
	v_lshlrev_b64_e32 v[4:5], 3, v[4:5]
	ds_load_2addr_b64 v[9:12], v6 offset1:32
	ds_load_2addr_b64 v[13:16], v6 offset0:64 offset1:96
	ds_load_2addr_b64 v[17:20], v6 offset0:128 offset1:160
	v_lshlrev_b64_e32 v[25:26], 3, v[1:2]
	v_add_co_u32 v7, vcc_lo, s4, v4
	s_wait_alu 0xfffd
	v_add_co_ci_u32_e32 v8, vcc_lo, s5, v5, vcc_lo
	v_add_nc_u32_e32 v1, s2, v1
	s_delay_alu instid0(VALU_DEP_3) | instskip(SKIP_1) | instid1(VALU_DEP_3)
	v_add_co_u32 v4, vcc_lo, v7, v21
	s_wait_alu 0xfffd
	v_add_co_ci_u32_e32 v5, vcc_lo, v8, v22, vcc_lo
	v_add_co_u32 v21, vcc_lo, v7, v23
	v_lshlrev_b64_e32 v[27:28], 3, v[1:2]
	v_add_nc_u32_e32 v1, s2, v1
	s_wait_alu 0xfffd
	v_add_co_ci_u32_e32 v22, vcc_lo, v8, v24, vcc_lo
	v_add_co_u32 v23, vcc_lo, v7, v25
	s_wait_dscnt 0x2
	s_clause 0x1
	global_store_b64 v[4:5], v[9:10], off
	global_store_b64 v[21:22], v[11:12], off
	v_lshlrev_b64_e32 v[4:5], 3, v[1:2]
	s_wait_alu 0xfffd
	v_add_co_ci_u32_e32 v24, vcc_lo, v8, v26, vcc_lo
	v_add_co_u32 v9, vcc_lo, v7, v27
	v_add_nc_u32_e32 v1, s2, v1
	s_wait_alu 0xfffd
	v_add_co_ci_u32_e32 v10, vcc_lo, v8, v28, vcc_lo
	v_add_co_u32 v4, vcc_lo, v7, v4
	s_wait_alu 0xfffd
	v_add_co_ci_u32_e32 v5, vcc_lo, v8, v5, vcc_lo
	v_lshlrev_b64_e32 v[21:22], 3, v[1:2]
	v_add_nc_u32_e32 v1, s2, v1
	s_wait_dscnt 0x1
	s_clause 0x1
	global_store_b64 v[23:24], v[13:14], off
	global_store_b64 v[9:10], v[15:16], off
	ds_load_2addr_b64 v[9:12], v6 offset0:192 offset1:224
	s_wait_dscnt 0x1
	global_store_b64 v[4:5], v[17:18], off
	s_mov_b32 s4, s1
	v_lshlrev_b64_e32 v[4:5], 3, v[1:2]
	v_add_nc_u32_e32 v1, s2, v1
	v_add_co_u32 v13, vcc_lo, v7, v21
	s_wait_alu 0xfffd
	v_add_co_ci_u32_e32 v14, vcc_lo, v8, v22, vcc_lo
	s_delay_alu instid0(VALU_DEP_3)
	v_lshlrev_b64_e32 v[15:16], 3, v[1:2]
	v_add_co_u32 v4, vcc_lo, v7, v4
	s_wait_alu 0xfffd
	v_add_co_ci_u32_e32 v5, vcc_lo, v8, v5, vcc_lo
	global_store_b64 v[13:14], v[19:20], off
	s_wait_dscnt 0x0
	global_store_b64 v[4:5], v[9:10], off
	v_add_co_u32 v15, vcc_lo, v7, v15
	s_wait_alu 0xfffd
	v_add_co_ci_u32_e32 v16, vcc_lo, v8, v16, vcc_lo
	v_cmp_gt_u32_e32 vcc_lo, s3, v0
                                        ; implicit-def: $vgpr4
                                        ; implicit-def: $vgpr5_vgpr6
	global_store_b64 v[15:16], v[11:12], off
	s_and_saveexec_b32 s3, vcc_lo
	s_cbranch_execz .LBB0_15
; %bb.14:
	ds_load_b64 v[3:4], v3 offset:2048
	v_add_nc_u32_e32 v1, s2, v1
	s_or_b32 s4, s1, exec_lo
	s_delay_alu instid0(VALU_DEP_1) | instskip(NEXT) | instid1(VALU_DEP_1)
	v_lshlrev_b64_e32 v[0:1], 3, v[1:2]
	v_add_co_u32 v5, vcc_lo, v7, v0
	s_wait_alu 0xfffd
	s_delay_alu instid0(VALU_DEP_2)
	v_add_co_ci_u32_e32 v6, vcc_lo, v8, v1, vcc_lo
	s_wait_dscnt 0x0
	global_store_b32 v[5:6], v3, off
.LBB0_15:
	s_wait_alu 0xfffe
	s_or_b32 exec_lo, exec_lo, s3
	s_delay_alu instid0(SALU_CYCLE_1)
	s_and_not1_b32 s1, s1, exec_lo
	s_and_b32 s2, s4, exec_lo
	s_wait_alu 0xfffe
	s_or_b32 s1, s1, s2
.LBB0_16:
	s_wait_alu 0xfffe
	s_or_b32 exec_lo, exec_lo, s0
.LBB0_17:
	s_and_saveexec_b32 s0, s1
	s_cbranch_execnz .LBB0_19
; %bb.18:
	s_nop 0
	s_sendmsg sendmsg(MSG_DEALLOC_VGPRS)
	s_endpgm
.LBB0_19:
	global_store_b32 v[5:6], v4, off offset:4
	s_nop 0
	s_sendmsg sendmsg(MSG_DEALLOC_VGPRS)
	s_endpgm
	.section	.rodata,"a",@progbits
	.p2align	6, 0x0
	.amdhsa_kernel fft_rtc_fwd_len256_factors_4_4_4_4_wgs_256_tpt_32_sp_op_CI_CI_sbrc_erc_z_xy_unaligned_dirReg
		.amdhsa_group_segment_fixed_size 0
		.amdhsa_private_segment_fixed_size 0
		.amdhsa_kernarg_size 104
		.amdhsa_user_sgpr_count 2
		.amdhsa_user_sgpr_dispatch_ptr 0
		.amdhsa_user_sgpr_queue_ptr 0
		.amdhsa_user_sgpr_kernarg_segment_ptr 1
		.amdhsa_user_sgpr_dispatch_id 0
		.amdhsa_user_sgpr_private_segment_size 0
		.amdhsa_wavefront_size32 1
		.amdhsa_uses_dynamic_stack 0
		.amdhsa_enable_private_segment 0
		.amdhsa_system_sgpr_workgroup_id_x 1
		.amdhsa_system_sgpr_workgroup_id_y 0
		.amdhsa_system_sgpr_workgroup_id_z 0
		.amdhsa_system_sgpr_workgroup_info 0
		.amdhsa_system_vgpr_workitem_id 0
		.amdhsa_next_free_vgpr 43
		.amdhsa_next_free_sgpr 42
		.amdhsa_reserve_vcc 1
		.amdhsa_float_round_mode_32 0
		.amdhsa_float_round_mode_16_64 0
		.amdhsa_float_denorm_mode_32 3
		.amdhsa_float_denorm_mode_16_64 3
		.amdhsa_fp16_overflow 0
		.amdhsa_workgroup_processor_mode 1
		.amdhsa_memory_ordered 1
		.amdhsa_forward_progress 0
		.amdhsa_round_robin_scheduling 0
		.amdhsa_exception_fp_ieee_invalid_op 0
		.amdhsa_exception_fp_denorm_src 0
		.amdhsa_exception_fp_ieee_div_zero 0
		.amdhsa_exception_fp_ieee_overflow 0
		.amdhsa_exception_fp_ieee_underflow 0
		.amdhsa_exception_fp_ieee_inexact 0
		.amdhsa_exception_int_div_zero 0
	.end_amdhsa_kernel
	.text
.Lfunc_end0:
	.size	fft_rtc_fwd_len256_factors_4_4_4_4_wgs_256_tpt_32_sp_op_CI_CI_sbrc_erc_z_xy_unaligned_dirReg, .Lfunc_end0-fft_rtc_fwd_len256_factors_4_4_4_4_wgs_256_tpt_32_sp_op_CI_CI_sbrc_erc_z_xy_unaligned_dirReg
                                        ; -- End function
	.section	.AMDGPU.csdata,"",@progbits
; Kernel info:
; codeLenInByte = 4568
; NumSgprs: 44
; NumVgprs: 43
; ScratchSize: 0
; MemoryBound: 0
; FloatMode: 240
; IeeeMode: 1
; LDSByteSize: 0 bytes/workgroup (compile time only)
; SGPRBlocks: 5
; VGPRBlocks: 5
; NumSGPRsForWavesPerEU: 44
; NumVGPRsForWavesPerEU: 43
; Occupancy: 16
; WaveLimiterHint : 1
; COMPUTE_PGM_RSRC2:SCRATCH_EN: 0
; COMPUTE_PGM_RSRC2:USER_SGPR: 2
; COMPUTE_PGM_RSRC2:TRAP_HANDLER: 0
; COMPUTE_PGM_RSRC2:TGID_X_EN: 1
; COMPUTE_PGM_RSRC2:TGID_Y_EN: 0
; COMPUTE_PGM_RSRC2:TGID_Z_EN: 0
; COMPUTE_PGM_RSRC2:TIDIG_COMP_CNT: 0
	.text
	.p2alignl 7, 3214868480
	.fill 96, 4, 3214868480
	.type	__hip_cuid_bb2977c4102590fe,@object ; @__hip_cuid_bb2977c4102590fe
	.section	.bss,"aw",@nobits
	.globl	__hip_cuid_bb2977c4102590fe
__hip_cuid_bb2977c4102590fe:
	.byte	0                               ; 0x0
	.size	__hip_cuid_bb2977c4102590fe, 1

	.ident	"AMD clang version 19.0.0git (https://github.com/RadeonOpenCompute/llvm-project roc-6.4.0 25133 c7fe45cf4b819c5991fe208aaa96edf142730f1d)"
	.section	".note.GNU-stack","",@progbits
	.addrsig
	.addrsig_sym __hip_cuid_bb2977c4102590fe
	.amdgpu_metadata
---
amdhsa.kernels:
  - .args:
      - .actual_access:  read_only
        .address_space:  global
        .offset:         0
        .size:           8
        .value_kind:     global_buffer
      - .offset:         8
        .size:           8
        .value_kind:     by_value
      - .actual_access:  read_only
        .address_space:  global
        .offset:         16
        .size:           8
        .value_kind:     global_buffer
      - .actual_access:  read_only
        .address_space:  global
        .offset:         24
        .size:           8
        .value_kind:     global_buffer
      - .actual_access:  read_only
        .address_space:  global
        .offset:         32
        .size:           8
        .value_kind:     global_buffer
      - .offset:         40
        .size:           8
        .value_kind:     by_value
      - .actual_access:  read_only
        .address_space:  global
        .offset:         48
        .size:           8
        .value_kind:     global_buffer
      - .actual_access:  read_only
        .address_space:  global
        .offset:         56
        .size:           8
        .value_kind:     global_buffer
      - .offset:         64
        .size:           4
        .value_kind:     by_value
      - .actual_access:  read_only
        .address_space:  global
        .offset:         72
        .size:           8
        .value_kind:     global_buffer
      - .actual_access:  read_only
        .address_space:  global
        .offset:         80
        .size:           8
        .value_kind:     global_buffer
      - .actual_access:  read_only
        .address_space:  global
        .offset:         88
        .size:           8
        .value_kind:     global_buffer
      - .actual_access:  write_only
        .address_space:  global
        .offset:         96
        .size:           8
        .value_kind:     global_buffer
    .group_segment_fixed_size: 0
    .kernarg_segment_align: 8
    .kernarg_segment_size: 104
    .language:       OpenCL C
    .language_version:
      - 2
      - 0
    .max_flat_workgroup_size: 256
    .name:           fft_rtc_fwd_len256_factors_4_4_4_4_wgs_256_tpt_32_sp_op_CI_CI_sbrc_erc_z_xy_unaligned_dirReg
    .private_segment_fixed_size: 0
    .sgpr_count:     44
    .sgpr_spill_count: 0
    .symbol:         fft_rtc_fwd_len256_factors_4_4_4_4_wgs_256_tpt_32_sp_op_CI_CI_sbrc_erc_z_xy_unaligned_dirReg.kd
    .uniform_work_group_size: 1
    .uses_dynamic_stack: false
    .vgpr_count:     43
    .vgpr_spill_count: 0
    .wavefront_size: 32
    .workgroup_processor_mode: 1
amdhsa.target:   amdgcn-amd-amdhsa--gfx1201
amdhsa.version:
  - 1
  - 2
...

	.end_amdgpu_metadata
